;; amdgpu-corpus repo=ROCm/rocFFT kind=compiled arch=gfx906 opt=O3
	.text
	.amdgcn_target "amdgcn-amd-amdhsa--gfx906"
	.amdhsa_code_object_version 6
	.protected	fft_rtc_back_len169_factors_13_13_wgs_156_tpt_13_half_op_CI_CI_sbrc_xy_z_aligned ; -- Begin function fft_rtc_back_len169_factors_13_13_wgs_156_tpt_13_half_op_CI_CI_sbrc_xy_z_aligned
	.globl	fft_rtc_back_len169_factors_13_13_wgs_156_tpt_13_half_op_CI_CI_sbrc_xy_z_aligned
	.p2align	8
	.type	fft_rtc_back_len169_factors_13_13_wgs_156_tpt_13_half_op_CI_CI_sbrc_xy_z_aligned,@function
fft_rtc_back_len169_factors_13_13_wgs_156_tpt_13_half_op_CI_CI_sbrc_xy_z_aligned: ; @fft_rtc_back_len169_factors_13_13_wgs_156_tpt_13_half_op_CI_CI_sbrc_xy_z_aligned
; %bb.0:
	s_load_dwordx4 s[16:19], s[4:5], 0x10
	s_mov_b32 s7, 0
	s_mov_b32 s29, s7
	s_mov_b64 s[30:31], 0
	s_waitcnt lgkmcnt(0)
	s_load_dwordx4 s[20:23], s[16:17], 0x8
	s_load_dwordx2 s[24:25], s[4:5], 0x0
	s_waitcnt lgkmcnt(0)
	s_add_i32 s0, s22, -1
	s_mul_hi_u32 s0, s0, 0xaaaaaaab
	s_lshr_b32 s0, s0, 3
	s_add_i32 s0, s0, 1
	s_mul_i32 s28, s0, s20
	v_cvt_f32_u32_e32 v1, s28
	s_load_dwordx4 s[0:3], s[4:5], 0x58
	s_load_dwordx2 s[26:27], s[4:5], 0x20
	s_load_dwordx4 s[12:15], s[18:19], 0x0
	s_load_dwordx2 s[22:23], s[18:19], 0x10
	s_waitcnt lgkmcnt(0)
	s_load_dwordx4 s[8:11], s[26:27], 0x0
	s_load_dwordx2 s[16:17], s[26:27], 0x10
	v_rcp_iflag_f32_e32 v1, v1
	s_waitcnt lgkmcnt(0)
	s_sub_i32 s11, 0, s28
	v_mul_f32_e32 v1, 0x4f7ffffe, v1
	v_cvt_u32_f32_e32 v3, v1
	v_mov_b32_e32 v1, s20
	v_mov_b32_e32 v2, s21
	v_readfirstlane_b32 s15, v3
	s_mul_i32 s11, s11, s15
	s_mul_hi_u32 s11, s15, s11
	s_add_i32 s15, s15, s11
	s_mul_hi_u32 s11, s6, s15
	s_mul_i32 s15, s11, s28
	s_sub_i32 s15, s6, s15
	s_add_i32 s17, s11, 1
	s_sub_i32 s23, s15, s28
	s_cmp_ge_u32 s15, s28
	s_cselect_b32 s11, s17, s11
	s_cselect_b32 s15, s23, s15
	s_add_i32 s17, s11, 1
	s_cmp_ge_u32 s15, s28
	s_cselect_b32 s11, s17, s11
	s_mul_i32 s15, s11, s28
	s_sub_i32 s28, s6, s15
	v_cmp_lt_u64_e32 vcc, s[28:29], v[1:2]
	v_cvt_f32_u32_e32 v1, s20
	s_cbranch_vccnz .LBB0_2
; %bb.1:
	v_rcp_iflag_f32_e32 v2, v1
	s_sub_i32 s15, 0, s20
	v_mul_f32_e32 v2, 0x4f7ffffe, v2
	v_cvt_u32_f32_e32 v2, v2
	v_readfirstlane_b32 s17, v2
	s_mul_i32 s15, s15, s17
	s_mul_hi_u32 s15, s17, s15
	s_add_i32 s17, s17, s15
	s_mul_hi_u32 s15, s28, s17
	s_mul_i32 s23, s15, s20
	s_sub_i32 s23, s28, s23
	s_add_i32 s17, s15, 1
	s_sub_i32 s28, s23, s20
	s_cmp_ge_u32 s23, s20
	s_cselect_b32 s15, s17, s15
	s_cselect_b32 s23, s28, s23
	s_add_i32 s17, s15, 1
	s_cmp_ge_u32 s23, s20
	s_cselect_b32 s30, s17, s15
.LBB0_2:
	v_mov_b32_e32 v2, s20
	v_mov_b32_e32 v3, s21
	v_cmp_lt_u64_e32 vcc, s[6:7], v[2:3]
	s_cbranch_vccnz .LBB0_4
; %bb.3:
	v_rcp_iflag_f32_e32 v1, v1
	s_sub_i32 s7, 0, s20
	v_mul_f32_e32 v1, 0x4f7ffffe, v1
	v_cvt_u32_f32_e32 v1, v1
	v_readfirstlane_b32 s15, v1
	s_mul_i32 s7, s7, s15
	s_mul_hi_u32 s7, s15, s7
	s_add_i32 s15, s15, s7
	s_mul_hi_u32 s7, s6, s15
	s_mul_i32 s7, s7, s20
	s_sub_i32 s6, s6, s7
	s_sub_i32 s7, s6, s20
	s_cmp_ge_u32 s6, s20
	s_cselect_b32 s6, s7, s6
	s_sub_i32 s7, s6, s20
	s_cmp_ge_u32 s6, s20
	s_cselect_b32 s6, s7, s6
.LBB0_4:
	s_load_dwordx2 s[20:21], s[4:5], 0x8
	s_mul_i32 s4, s30, 12
	s_mul_i32 s5, s6, s14
	;; [unrolled: 1-line block ×3, first 2 shown]
	s_add_i32 s14, s5, s7
	s_mul_i32 s5, s9, s4
	s_mul_hi_u32 s7, s8, s4
	s_add_i32 s5, s7, s5
	s_waitcnt lgkmcnt(0)
	s_lshl_b64 s[20:21], s[20:21], 3
	s_add_u32 s18, s18, s20
	s_addc_u32 s19, s19, s21
	v_mul_u32_u24_e32 v1, 0x184, v0
	s_load_dwordx2 s[28:29], s[18:19], 0x0
	v_lshrrev_b32_e32 v5, 16, v1
	v_mul_lo_u16_e32 v1, 0xa9, v5
	v_sub_u16_e32 v2, v0, v1
	v_mad_u64_u32 v[3:4], s[30:31], s12, v2, 0
	s_waitcnt lgkmcnt(0)
	s_mul_i32 s7, s29, s11
	s_mul_hi_u32 s17, s28, s11
	s_add_i32 s29, s17, s7
	s_add_u32 s18, s26, s20
	v_mov_b32_e32 v1, v4
	s_addc_u32 s19, s27, s21
	v_mad_u64_u32 v[1:2], s[20:21], s13, v2, v[1:2]
	s_load_dwordx2 s[18:19], s[18:19], 0x0
	s_mul_i32 s28, s28, s11
	v_mov_b32_e32 v4, v1
	v_mul_lo_u32 v1, s22, v5
	v_add_u32_e32 v5, 0x9c, v0
	v_mul_u32_u24_e32 v6, 0x184, v5
	s_waitcnt lgkmcnt(0)
	s_mul_i32 s7, s19, s11
	s_mul_hi_u32 s17, s18, s11
	v_lshrrev_b32_e32 v8, 16, v6
	s_add_i32 s7, s17, s7
	s_lshl_b64 s[20:21], s[28:29], 2
	v_mul_lo_u16_e32 v6, 0xa9, v8
	s_mov_b32 s15, 0
	s_add_u32 s17, s0, s20
	v_sub_u16_e32 v9, v5, v6
	s_addc_u32 s19, s1, s21
	s_lshl_b64 s[0:1], s[14:15], 2
	v_mad_u64_u32 v[5:6], s[20:21], s12, v9, 0
	s_add_u32 s0, s17, s0
	v_lshlrev_b64 v[3:4], 2, v[3:4]
	s_addc_u32 s1, s19, s1
	v_mov_b32_e32 v2, 0
	v_mov_b32_e32 v7, s1
	v_add_co_u32_e32 v10, vcc, s0, v3
	v_addc_co_u32_e32 v11, vcc, v7, v4, vcc
	v_lshlrev_b64 v[3:4], 2, v[1:2]
	v_mov_b32_e32 v1, v6
	v_mad_u64_u32 v[6:7], s[20:21], s13, v9, v[1:2]
	v_add_u32_e32 v7, 0x138, v0
	v_mul_lo_u32 v1, s22, v8
	v_mul_u32_u24_e32 v8, 0x184, v7
	v_add_co_u32_e32 v3, vcc, v10, v3
	v_lshrrev_b32_e32 v10, 16, v8
	v_mul_lo_u16_e32 v8, 0xa9, v10
	v_addc_co_u32_e32 v4, vcc, v11, v4, vcc
	v_sub_u16_e32 v11, v7, v8
	v_mad_u64_u32 v[7:8], s[20:21], s12, v11, 0
	v_lshlrev_b64 v[5:6], 2, v[5:6]
	v_mov_b32_e32 v9, s1
	v_add_co_u32_e32 v12, vcc, s0, v5
	v_addc_co_u32_e32 v13, vcc, v9, v6, vcc
	v_lshlrev_b64 v[5:6], 2, v[1:2]
	v_mov_b32_e32 v1, v8
	v_mad_u64_u32 v[8:9], s[20:21], s13, v11, v[1:2]
	v_add_u32_e32 v9, 0x1d4, v0
	v_mul_lo_u32 v1, s22, v10
	v_mul_u32_u24_e32 v10, 0x184, v9
	v_add_co_u32_e32 v5, vcc, v12, v5
	v_lshrrev_b32_e32 v12, 16, v10
	v_mul_lo_u16_e32 v10, 0xa9, v12
	v_addc_co_u32_e32 v6, vcc, v13, v6, vcc
	v_sub_u16_e32 v13, v9, v10
	v_mad_u64_u32 v[9:10], s[20:21], s12, v13, 0
	v_lshlrev_b64 v[7:8], 2, v[7:8]
	;; [unrolled: 16-line block ×6, first 2 shown]
	v_mov_b32_e32 v19, s1
	v_add_co_u32_e32 v22, vcc, s0, v15
	v_addc_co_u32_e32 v23, vcc, v19, v16, vcc
	v_lshlrev_b64 v[15:16], 2, v[1:2]
	v_mov_b32_e32 v1, v18
	v_mad_u64_u32 v[18:19], s[20:21], s13, v21, v[1:2]
	v_add_u32_e32 v19, 0x4e0, v0
	v_mul_lo_u32 v1, s22, v20
	v_mul_u32_u24_e32 v20, 0xc1f, v19
	v_add_co_u32_e32 v15, vcc, v22, v15
	v_lshrrev_b32_e32 v22, 19, v20
	v_mul_lo_u16_e32 v20, 0xa9, v22
	v_addc_co_u32_e32 v16, vcc, v23, v16, vcc
	v_sub_u16_e32 v23, v19, v20
	v_lshlrev_b64 v[17:18], 2, v[17:18]
	v_mad_u64_u32 v[19:20], s[20:21], s12, v23, 0
	v_mov_b32_e32 v21, s1
	v_add_co_u32_e32 v24, vcc, s0, v17
	v_addc_co_u32_e32 v25, vcc, v21, v18, vcc
	v_lshlrev_b64 v[17:18], 2, v[1:2]
	v_mov_b32_e32 v1, v20
	v_mad_u64_u32 v[20:21], s[20:21], s13, v23, v[1:2]
	v_add_co_u32_e32 v17, vcc, v24, v17
	v_addc_co_u32_e32 v18, vcc, v25, v18, vcc
	global_load_dword v21, v[3:4], off
	global_load_dword v23, v[5:6], off
	;; [unrolled: 1-line block ×8, first 2 shown]
	v_add_u32_e32 v5, 0x57c, v0
	v_mul_u32_u24_e32 v6, 0xc1f, v5
	v_lshrrev_b32_e32 v8, 19, v6
	v_mul_lo_u16_e32 v6, 0xa9, v8
	v_sub_u16_e32 v9, v5, v6
	v_mul_lo_u32 v1, s22, v22
	v_mad_u64_u32 v[5:6], s[20:21], s12, v9, 0
	v_lshlrev_b64 v[3:4], 2, v[19:20]
	v_mov_b32_e32 v7, s1
	v_add_co_u32_e32 v10, vcc, s0, v3
	v_addc_co_u32_e32 v11, vcc, v7, v4, vcc
	v_lshlrev_b64 v[3:4], 2, v[1:2]
	v_mov_b32_e32 v1, v6
	v_mad_u64_u32 v[6:7], s[20:21], s13, v9, v[1:2]
	v_add_u32_e32 v7, 0x618, v0
	v_mul_lo_u32 v1, s22, v8
	v_mul_u32_u24_e32 v8, 0xc1f, v7
	v_add_co_u32_e32 v3, vcc, v10, v3
	v_lshrrev_b32_e32 v10, 19, v8
	v_mul_lo_u16_e32 v8, 0xa9, v10
	v_addc_co_u32_e32 v4, vcc, v11, v4, vcc
	v_sub_u16_e32 v11, v7, v8
	v_mad_u64_u32 v[7:8], s[20:21], s12, v11, 0
	v_lshlrev_b64 v[5:6], 2, v[5:6]
	v_mov_b32_e32 v9, s1
	v_add_co_u32_e32 v12, vcc, s0, v5
	v_addc_co_u32_e32 v13, vcc, v9, v6, vcc
	v_lshlrev_b64 v[5:6], 2, v[1:2]
	v_mov_b32_e32 v1, v8
	v_mad_u64_u32 v[8:9], s[20:21], s13, v11, v[1:2]
	v_add_u32_e32 v9, 0x6b4, v0
	v_mul_lo_u32 v1, s22, v10
	v_mul_u32_u24_e32 v10, 0xc1f, v9
	v_add_co_u32_e32 v5, vcc, v12, v5
	v_lshrrev_b32_e32 v12, 19, v10
	v_mul_lo_u16_e32 v10, 0xa9, v12
	v_addc_co_u32_e32 v6, vcc, v13, v6, vcc
	v_sub_u16_e32 v13, v9, v10
	;; [unrolled: 16-line block ×3, first 2 shown]
	v_mad_u64_u32 v[11:12], s[20:21], s12, v15, 0
	v_lshlrev_b64 v[9:10], 2, v[9:10]
	v_mov_b32_e32 v13, s1
	v_add_co_u32_e32 v16, vcc, s0, v9
	v_addc_co_u32_e32 v17, vcc, v13, v10, vcc
	v_lshlrev_b64 v[9:10], 2, v[1:2]
	v_mov_b32_e32 v1, v12
	v_mad_u64_u32 v[12:13], s[12:13], s13, v15, v[1:2]
	v_mul_lo_u32 v1, s22, v14
	v_add_co_u32_e32 v9, vcc, v16, v9
	v_lshlrev_b64 v[11:12], 2, v[11:12]
	v_addc_co_u32_e32 v10, vcc, v17, v10, vcc
	v_mov_b32_e32 v13, s1
	v_add_co_u32_e32 v14, vcc, s0, v11
	v_addc_co_u32_e32 v13, vcc, v13, v12, vcc
	v_lshlrev_b64 v[11:12], 2, v[1:2]
	s_mov_b32 s0, 0xaaaaaaab
	v_add_co_u32_e32 v11, vcc, v14, v11
	v_addc_co_u32_e32 v12, vcc, v13, v12, vcc
	global_load_dword v1, v[3:4], off
	global_load_dword v13, v[5:6], off
	;; [unrolled: 1-line block ×5, first 2 shown]
	v_mul_u32_u24_e32 v3, 0x13b2, v0
	v_add_u32_sdwa v4, s4, v3 dst_sel:DWORD dst_unused:UNUSED_PAD src0_sel:DWORD src1_sel:WORD_1
	v_mul_hi_u32 v5, v4, s0
	s_mov_b32 s13, 0xb770
	s_mov_b32 s19, 0xba95
	;; [unrolled: 1-line block ×3, first 2 shown]
	v_lshrrev_b32_e32 v5, 3, v5
	v_mul_lo_u32 v5, v5, 12
	s_mov_b32 s28, 0xb94e
	s_movk_i32 s17, 0x3b15
	s_movk_i32 s21, 0x388b
	v_sub_u32_e32 v4, v4, v5
	v_lshl_add_u32 v5, v0, 2, 0
	v_add_u32_e32 v6, 0x400, v5
	s_waitcnt vmcnt(9)
	ds_write2_b32 v6, v24, v25 offset0:56 offset1:212
	v_add_u32_e32 v6, 0x900, v5
	s_waitcnt vmcnt(7)
	ds_write2_b32 v6, v26, v27 offset0:48 offset1:204
	;; [unrolled: 3-line block ×3, first 2 shown]
	v_add_u32_e32 v6, 0x1200, v5
	ds_write2_b32 v5, v21, v23 offset1:156
	v_mul_u32_u24_e32 v4, 0xa9, v4
	s_movk_i32 s1, 0x2fb7
	s_mov_b32 s26, 0xb5ac
	s_mov_b32 s29, 0xb9fd
	;; [unrolled: 1-line block ×3, first 2 shown]
	s_movk_i32 s20, 0x3770
	s_movk_i32 s22, 0x3a95
	;; [unrolled: 1-line block ×5, first 2 shown]
	s_mov_b32 s33, 0xb3a8
	s_movk_i32 s34, 0x33a8
	s_mul_i32 s4, s8, s4
	s_mul_i32 s14, s6, s16
	;; [unrolled: 1-line block ×3, first 2 shown]
	s_waitcnt vmcnt(3)
	ds_write2_b32 v6, v1, v13 offset0:96 offset1:252
	v_add_u32_e32 v1, 0x1800, v5
	s_waitcnt vmcnt(1)
	ds_write2_b32 v1, v14, v15 offset0:24 offset1:180
	s_waitcnt vmcnt(0)
	ds_write_b32 v5, v16 offset:7488
	v_mov_b32_e32 v1, 13
	v_mul_lo_u16_sdwa v1, v3, v1 dst_sel:DWORD dst_unused:UNUSED_PAD src0_sel:WORD_1 src1_sel:DWORD
	v_sub_u16_e32 v8, v0, v1
	v_lshlrev_b32_e32 v1, 2, v4
	v_add_u32_e32 v10, 0, v1
	v_lshlrev_b32_e32 v3, 2, v8
	v_add_u32_e32 v7, v10, v3
	s_waitcnt lgkmcnt(0)
	s_barrier
	ds_read_b32 v19, v7
	v_add3_u32 v1, 0, v3, v1
	ds_read2_b32 v[11:12], v1 offset0:13 offset1:26
	ds_read2_b32 v[13:14], v1 offset0:39 offset1:52
	;; [unrolled: 1-line block ×6, first 2 shown]
	s_waitcnt lgkmcnt(5)
	v_alignbit_b32 v20, s0, v11, 16
	v_alignbit_b32 v21, s0, v12, 16
	v_pk_add_f16 v9, v11, v19 op_sel_hi:[1,0]
	v_pk_add_f16 v20, v20, v19 op_sel:[0,1] op_sel_hi:[1,0]
	v_pk_add_f16 v9, v9, v12
	v_pk_add_f16 v20, v20, v21
	s_waitcnt lgkmcnt(4)
	v_alignbit_b32 v21, s0, v13, 16
	v_pk_add_f16 v9, v9, v13
	v_pk_add_f16 v20, v20, v21
	v_alignbit_b32 v21, s0, v14, 16
	v_pk_add_f16 v9, v9, v14
	v_pk_add_f16 v20, v20, v21
	s_waitcnt lgkmcnt(3)
	v_alignbit_b32 v21, s0, v3, 16
	v_pk_add_f16 v9, v9, v3
	v_pk_add_f16 v20, v20, v21
	v_alignbit_b32 v21, s0, v4, 16
	;; [unrolled: 7-line block ×5, first 2 shown]
	v_pk_add_f16 v9, v9, v18
	v_pk_add_f16 v20, v20, v21
	s_mov_b32 s0, 0x1000504
	v_perm_b32 v9, v9, v20, s0
	v_pk_add_f16 v20, v18, v11
	v_pk_add_f16 v11, v11, v18 neg_lo:[0,1] neg_hi:[0,1]
	s_mov_b32 s0, 0xbbf1
	v_mul_f16_sdwa v18, v11, s13 dst_sel:DWORD dst_unused:UNUSED_PAD src0_sel:WORD_1 src1_sel:DWORD
	v_mul_f16_sdwa v24, v11, s19 dst_sel:DWORD dst_unused:UNUSED_PAD src0_sel:WORD_1 src1_sel:DWORD
	;; [unrolled: 1-line block ×5, first 2 shown]
	v_fma_f16 v21, v20, s17, v18
	v_mul_f16_sdwa v22, v20, s17 dst_sel:DWORD dst_unused:UNUSED_PAD src0_sel:WORD_1 src1_sel:DWORD
	v_fma_f16 v18, v20, s17, -v18
	v_fma_f16 v25, v20, s21, v24
	v_mul_f16_sdwa v26, v20, s21 dst_sel:DWORD dst_unused:UNUSED_PAD src0_sel:WORD_1 src1_sel:DWORD
	v_fma_f16 v24, v20, s21, -v24
	;; [unrolled: 3-line block ×3, first 2 shown]
	v_pk_add_f16 v33, v17, v12
	v_pk_add_f16 v12, v12, v17 neg_lo:[0,1] neg_hi:[0,1]
	v_pk_add_f16 v17, v16, v13
	v_pk_add_f16 v13, v13, v16 neg_lo:[0,1] neg_hi:[0,1]
	;; [unrolled: 2-line block ×3, first 2 shown]
	v_fma_f16 v15, v20, s26, v32
	v_mul_f16_sdwa v34, v20, s26 dst_sel:DWORD dst_unused:UNUSED_PAD src0_sel:WORD_1 src1_sel:DWORD
	v_fma_f16 v32, v20, s26, -v32
	v_fma_f16 v37, v20, s29, v36
	v_fma_f16 v36, v20, s29, -v36
	v_mul_f16_sdwa v38, v20, s29 dst_sel:DWORD dst_unused:UNUSED_PAD src0_sel:WORD_1 src1_sel:DWORD
	v_pk_mul_f16 v20, v20, s31 op_sel_hi:[1,0]
	v_fma_f16 v23, v11, s20, v22
	v_fma_f16 v22, v11, s13, v22
	;; [unrolled: 1-line block ×10, first 2 shown]
	v_pk_fma_f16 v40, v11, s33, v20 op_sel:[0,0,1] op_sel_hi:[1,0,0]
	v_pk_fma_f16 v11, v11, s33, v20 op_sel:[0,0,1] op_sel_hi:[1,0,0] neg_lo:[1,0,0] neg_hi:[1,0,0]
	v_add_f16_e32 v20, v21, v19
	v_add_f16_sdwa v21, v23, v19 dst_sel:DWORD dst_unused:UNUSED_PAD src0_sel:DWORD src1_sel:WORD_1
	v_add_f16_e32 v18, v18, v19
	v_add_f16_sdwa v22, v22, v19 dst_sel:DWORD dst_unused:UNUSED_PAD src0_sel:DWORD src1_sel:WORD_1
	;; [unrolled: 2-line block ×10, first 2 shown]
	v_pk_add_f16 v39, v40, v19 op_sel:[0,1] op_sel_hi:[1,0]
	v_pk_add_f16 v11, v11, v19 op_sel:[0,1] op_sel_hi:[1,0]
	v_mul_f16_sdwa v19, v12, s19 dst_sel:DWORD dst_unused:UNUSED_PAD src0_sel:WORD_1 src1_sel:DWORD
	v_fma_f16 v40, v33, s21, v19
	v_add_f16_e32 v20, v40, v20
	v_mul_f16_sdwa v40, v33, s21 dst_sel:DWORD dst_unused:UNUSED_PAD src0_sel:WORD_1 src1_sel:DWORD
	v_fma_f16 v19, v33, s21, -v19
	v_add_f16_e32 v18, v19, v18
	v_fma_f16 v19, v12, s19, v40
	v_add_f16_e32 v19, v19, v22
	v_mul_f16_sdwa v22, v12, s23 dst_sel:DWORD dst_unused:UNUSED_PAD src0_sel:WORD_1 src1_sel:DWORD
	v_fma_f16 v41, v12, s22, v40
	v_fma_f16 v40, v33, s26, v22
	v_add_f16_e32 v23, v40, v23
	v_mul_f16_sdwa v40, v33, s26 dst_sel:DWORD dst_unused:UNUSED_PAD src0_sel:WORD_1 src1_sel:DWORD
	v_fma_f16 v22, v33, s26, -v22
	v_add_f16_e32 v22, v22, v24
	v_fma_f16 v24, v12, s23, v40
	v_add_f16_e32 v24, v24, v26
	v_mul_f16_sdwa v26, v12, s33 dst_sel:DWORD dst_unused:UNUSED_PAD src0_sel:WORD_1 src1_sel:DWORD
	v_add_f16_e32 v21, v41, v21
	v_fma_f16 v41, v12, s27, v40
	v_fma_f16 v40, v33, s31, v26
	v_add_f16_e32 v27, v40, v27
	v_mul_f16_sdwa v40, v33, s31 dst_sel:DWORD dst_unused:UNUSED_PAD src0_sel:WORD_1 src1_sel:DWORD
	v_fma_f16 v26, v33, s31, -v26
	v_add_f16_e32 v26, v26, v28
	v_fma_f16 v28, v12, s33, v40
	v_add_f16_e32 v28, v28, v30
	v_mul_f16_sdwa v30, v12, s30 dst_sel:DWORD dst_unused:UNUSED_PAD src0_sel:WORD_1 src1_sel:DWORD
	v_add_f16_e32 v25, v41, v25
	;; [unrolled: 10-line block ×3, first 2 shown]
	v_fma_f16 v41, v12, s28, v40
	v_fma_f16 v40, v33, s1, v34
	v_add_f16_e32 v35, v40, v35
	v_mul_f16_sdwa v40, v33, s1 dst_sel:DWORD dst_unused:UNUSED_PAD src0_sel:WORD_1 src1_sel:DWORD
	v_fma_f16 v34, v33, s1, -v34
	v_add_f16_e32 v34, v34, v36
	v_fma_f16 v36, v12, s12, v40
	v_pk_mul_f16 v33, v33, s17 op_sel_hi:[1,0]
	v_add_f16_e32 v31, v41, v31
	v_fma_f16 v41, v12, s0, v40
	v_add_f16_e32 v36, v36, v38
	v_pk_fma_f16 v38, v12, s20, v33 op_sel:[0,0,1] op_sel_hi:[1,0,0]
	v_pk_fma_f16 v12, v12, s20, v33 op_sel:[0,0,1] op_sel_hi:[1,0,0] neg_lo:[1,0,0] neg_hi:[1,0,0]
	v_pk_add_f16 v11, v12, v11
	v_mul_f16_sdwa v12, v13, s0 dst_sel:DWORD dst_unused:UNUSED_PAD src0_sel:WORD_1 src1_sel:DWORD
	v_fma_f16 v33, v17, s1, v12
	v_add_f16_e32 v20, v33, v20
	v_mul_f16_sdwa v33, v17, s1 dst_sel:DWORD dst_unused:UNUSED_PAD src0_sel:WORD_1 src1_sel:DWORD
	v_fma_f16 v12, v17, s1, -v12
	v_add_f16_e32 v12, v12, v18
	v_fma_f16 v18, v13, s0, v33
	v_add_f16_e32 v18, v18, v19
	v_mul_f16_sdwa v19, v13, s33 dst_sel:DWORD dst_unused:UNUSED_PAD src0_sel:WORD_1 src1_sel:DWORD
	v_pk_add_f16 v38, v38, v39
	v_fma_f16 v39, v13, s12, v33
	v_fma_f16 v33, v17, s31, v19
	v_add_f16_e32 v23, v33, v23
	v_mul_f16_sdwa v33, v17, s31 dst_sel:DWORD dst_unused:UNUSED_PAD src0_sel:WORD_1 src1_sel:DWORD
	v_fma_f16 v19, v17, s31, -v19
	v_add_f16_e32 v19, v19, v22
	v_fma_f16 v22, v13, s33, v33
	v_add_f16_e32 v22, v22, v24
	v_mul_f16_sdwa v24, v13, s27 dst_sel:DWORD dst_unused:UNUSED_PAD src0_sel:WORD_1 src1_sel:DWORD
	v_add_f16_e32 v21, v39, v21
	v_fma_f16 v39, v13, s34, v33
	v_fma_f16 v33, v17, s26, v24
	v_add_f16_e32 v27, v33, v27
	v_mul_f16_sdwa v33, v17, s26 dst_sel:DWORD dst_unused:UNUSED_PAD src0_sel:WORD_1 src1_sel:DWORD
	v_fma_f16 v24, v17, s26, -v24
	v_add_f16_e32 v24, v24, v26
	v_fma_f16 v26, v13, s27, v33
	v_add_f16_e32 v26, v26, v28
	v_mul_f16_sdwa v28, v13, s20 dst_sel:DWORD dst_unused:UNUSED_PAD src0_sel:WORD_1 src1_sel:DWORD
	v_add_f16_e32 v25, v39, v25
	;; [unrolled: 10-line block ×3, first 2 shown]
	v_fma_f16 v39, v13, s13, v33
	v_fma_f16 v33, v17, s21, v32
	v_add_f16_e32 v33, v33, v35
	v_mul_f16_sdwa v35, v17, s21 dst_sel:DWORD dst_unused:UNUSED_PAD src0_sel:WORD_1 src1_sel:DWORD
	v_fma_f16 v32, v17, s21, -v32
	v_pk_mul_f16 v17, v17, s29 op_sel_hi:[1,0]
	v_add_f16_e32 v31, v39, v31
	v_fma_f16 v39, v13, s22, v35
	v_add_f16_e32 v32, v32, v34
	v_fma_f16 v34, v13, s19, v35
	v_pk_fma_f16 v35, v13, s28, v17 op_sel:[0,0,1] op_sel_hi:[1,0,0]
	v_pk_fma_f16 v13, v13, s28, v17 op_sel:[0,0,1] op_sel_hi:[1,0,0] neg_lo:[1,0,0] neg_hi:[1,0,0]
	v_pk_add_f16 v11, v13, v11
	v_mul_f16_sdwa v13, v14, s23 dst_sel:DWORD dst_unused:UNUSED_PAD src0_sel:WORD_1 src1_sel:DWORD
	v_fma_f16 v17, v16, s26, v13
	v_add_f16_e32 v17, v17, v20
	v_mul_f16_sdwa v20, v16, s26 dst_sel:DWORD dst_unused:UNUSED_PAD src0_sel:WORD_1 src1_sel:DWORD
	v_fma_f16 v13, v16, s26, -v13
	v_add_f16_e32 v12, v13, v12
	v_fma_f16 v13, v14, s23, v20
	v_add_f16_e32 v13, v13, v18
	v_mul_f16_sdwa v18, v14, s30 dst_sel:DWORD dst_unused:UNUSED_PAD src0_sel:WORD_1 src1_sel:DWORD
	v_add_f16_e32 v34, v34, v36
	v_fma_f16 v36, v14, s27, v20
	v_fma_f16 v20, v16, s29, v18
	v_add_f16_e32 v20, v20, v23
	v_mul_f16_sdwa v23, v16, s29 dst_sel:DWORD dst_unused:UNUSED_PAD src0_sel:WORD_1 src1_sel:DWORD
	v_fma_f16 v18, v16, s29, -v18
	v_add_f16_e32 v18, v18, v19
	v_fma_f16 v19, v14, s30, v23
	v_add_f16_e32 v19, v19, v22
	v_mul_f16_sdwa v22, v14, s20 dst_sel:DWORD dst_unused:UNUSED_PAD src0_sel:WORD_1 src1_sel:DWORD
	v_add_f16_e32 v21, v36, v21
	v_fma_f16 v36, v14, s28, v23
	;; [unrolled: 10-line block ×3, first 2 shown]
	v_fma_f16 v27, v16, s1, v26
	v_add_f16_e32 v15, v27, v15
	v_mul_f16_sdwa v27, v16, s1 dst_sel:DWORD dst_unused:UNUSED_PAD src0_sel:WORD_1 src1_sel:DWORD
	v_fma_f16 v26, v16, s1, -v26
	v_add_f16_e32 v29, v36, v29
	v_fma_f16 v36, v14, s12, v27
	v_add_f16_e32 v26, v26, v28
	v_fma_f16 v27, v14, s0, v27
	v_mul_f16_sdwa v28, v14, s34 dst_sel:DWORD dst_unused:UNUSED_PAD src0_sel:WORD_1 src1_sel:DWORD
	v_add_f16_e32 v27, v27, v30
	v_fma_f16 v30, v16, s31, v28
	v_add_f16_e32 v30, v30, v33
	v_mul_f16_sdwa v33, v16, s31 dst_sel:DWORD dst_unused:UNUSED_PAD src0_sel:WORD_1 src1_sel:DWORD
	v_fma_f16 v28, v16, s31, -v28
	v_pk_mul_f16 v16, v16, s21 op_sel_hi:[1,0]
	v_add_f16_e32 v31, v36, v31
	v_fma_f16 v36, v14, s33, v33
	v_add_f16_e32 v28, v28, v32
	v_fma_f16 v32, v14, s34, v33
	v_pk_fma_f16 v33, v14, s22, v16 op_sel:[0,0,1] op_sel_hi:[1,0,0]
	v_pk_fma_f16 v14, v14, s22, v16 op_sel:[0,0,1] op_sel_hi:[1,0,0] neg_lo:[1,0,0] neg_hi:[1,0,0]
	v_pk_add_f16 v11, v14, v11
	v_pk_add_f16 v14, v6, v3
	v_pk_add_f16 v3, v3, v6 neg_lo:[0,1] neg_hi:[0,1]
	v_mul_f16_sdwa v6, v3, s28 dst_sel:DWORD dst_unused:UNUSED_PAD src0_sel:WORD_1 src1_sel:DWORD
	v_fma_f16 v16, v14, s29, v6
	v_add_f16_e32 v16, v16, v17
	v_mul_f16_sdwa v17, v14, s29 dst_sel:DWORD dst_unused:UNUSED_PAD src0_sel:WORD_1 src1_sel:DWORD
	v_fma_f16 v6, v14, s29, -v6
	v_add_f16_e32 v6, v6, v12
	v_fma_f16 v12, v3, s28, v17
	v_add_f16_e32 v12, v12, v13
	v_mul_f16_sdwa v13, v3, s12 dst_sel:DWORD dst_unused:UNUSED_PAD src0_sel:WORD_1 src1_sel:DWORD
	v_add_f16_e32 v32, v32, v34
	v_fma_f16 v34, v3, s30, v17
	v_fma_f16 v17, v14, s1, v13
	v_add_f16_e32 v17, v17, v20
	v_mul_f16_sdwa v20, v14, s1 dst_sel:DWORD dst_unused:UNUSED_PAD src0_sel:WORD_1 src1_sel:DWORD
	v_fma_f16 v13, v14, s1, -v13
	v_add_f16_e32 v13, v13, v18
	v_fma_f16 v18, v3, s12, v20
	v_add_f16_e32 v18, v18, v19
	v_mul_f16_sdwa v19, v3, s19 dst_sel:DWORD dst_unused:UNUSED_PAD src0_sel:WORD_1 src1_sel:DWORD
	v_add_f16_e32 v21, v34, v21
	v_fma_f16 v34, v3, s0, v20
	v_fma_f16 v20, v14, s21, v19
	v_add_f16_e32 v20, v20, v23
	v_mul_f16_sdwa v23, v14, s21 dst_sel:DWORD dst_unused:UNUSED_PAD src0_sel:WORD_1 src1_sel:DWORD
	v_fma_f16 v19, v14, s21, -v19
	v_add_f16_e32 v25, v34, v25
	v_fma_f16 v34, v3, s22, v23
	v_add_f16_e32 v19, v19, v22
	v_fma_f16 v22, v3, s19, v23
	v_mul_f16_sdwa v23, v3, s34 dst_sel:DWORD dst_unused:UNUSED_PAD src0_sel:WORD_1 src1_sel:DWORD
	v_add_f16_e32 v22, v22, v24
	v_fma_f16 v24, v14, s31, v23
	v_add_f16_e32 v15, v24, v15
	v_mul_f16_sdwa v24, v14, s31 dst_sel:DWORD dst_unused:UNUSED_PAD src0_sel:WORD_1 src1_sel:DWORD
	v_fma_f16 v23, v14, s31, -v23
	v_add_f16_e32 v29, v34, v29
	v_fma_f16 v34, v3, s33, v24
	v_add_f16_e32 v23, v23, v26
	v_fma_f16 v24, v3, s34, v24
	v_mul_f16_sdwa v26, v3, s20 dst_sel:DWORD dst_unused:UNUSED_PAD src0_sel:WORD_1 src1_sel:DWORD
	v_add_f16_e32 v24, v24, v27
	v_fma_f16 v27, v14, s17, v26
	v_add_f16_e32 v27, v27, v30
	v_mul_f16_sdwa v30, v14, s17 dst_sel:DWORD dst_unused:UNUSED_PAD src0_sel:WORD_1 src1_sel:DWORD
	v_fma_f16 v26, v14, s17, -v26
	v_pk_mul_f16 v14, v14, s26 op_sel_hi:[1,0]
	v_add_f16_e32 v31, v34, v31
	v_fma_f16 v34, v3, s13, v30
	v_add_f16_e32 v26, v26, v28
	v_fma_f16 v28, v3, s20, v30
	v_pk_fma_f16 v30, v3, s23, v14 op_sel:[0,0,1] op_sel_hi:[1,0,0]
	v_pk_fma_f16 v3, v3, s23, v14 op_sel:[0,0,1] op_sel_hi:[1,0,0] neg_lo:[1,0,0] neg_hi:[1,0,0]
	v_pk_add_f16 v3, v3, v11
	v_pk_add_f16 v11, v5, v4
	v_pk_add_f16 v4, v4, v5 neg_lo:[0,1] neg_hi:[0,1]
	v_mul_f16_sdwa v5, v4, s33 dst_sel:DWORD dst_unused:UNUSED_PAD src0_sel:WORD_1 src1_sel:DWORD
	v_fma_f16 v14, v11, s31, v5
	v_add_f16_e32 v14, v14, v16
	v_mul_f16_sdwa v16, v11, s31 dst_sel:DWORD dst_unused:UNUSED_PAD src0_sel:WORD_1 src1_sel:DWORD
	v_fma_f16 v5, v11, s31, -v5
	v_add_f16_e32 v5, v5, v6
	v_fma_f16 v6, v4, s33, v16
	v_add_f16_e32 v6, v6, v12
	v_mul_f16_sdwa v12, v4, s20 dst_sel:DWORD dst_unused:UNUSED_PAD src0_sel:WORD_1 src1_sel:DWORD
	v_add_f16_e32 v28, v28, v32
	v_fma_f16 v32, v4, s34, v16
	v_fma_f16 v16, v11, s17, v12
	v_add_f16_e32 v16, v16, v17
	v_mul_f16_sdwa v17, v11, s17 dst_sel:DWORD dst_unused:UNUSED_PAD src0_sel:WORD_1 src1_sel:DWORD
	v_fma_f16 v12, v11, s17, -v12
	v_add_f16_e32 v21, v32, v21
	v_fma_f16 v32, v4, s13, v17
	v_add_f16_e32 v12, v12, v13
	v_fma_f16 v13, v4, s20, v17
	v_mul_f16_sdwa v17, v4, s28 dst_sel:DWORD dst_unused:UNUSED_PAD src0_sel:WORD_1 src1_sel:DWORD
	v_add_f16_e32 v13, v13, v18
	v_fma_f16 v18, v11, s29, v17
	v_add_f16_e32 v18, v18, v20
	v_mul_f16_sdwa v20, v11, s29 dst_sel:DWORD dst_unused:UNUSED_PAD src0_sel:WORD_1 src1_sel:DWORD
	v_fma_f16 v17, v11, s29, -v17
	v_add_f16_e32 v25, v32, v25
	v_fma_f16 v32, v4, s30, v20
	v_add_f16_e32 v17, v17, v19
	v_fma_f16 v19, v4, s28, v20
	v_mul_f16_sdwa v20, v4, s22 dst_sel:DWORD dst_unused:UNUSED_PAD src0_sel:WORD_1 src1_sel:DWORD
	v_add_f16_e32 v19, v19, v22
	;; [unrolled: 10-line block ×3, first 2 shown]
	v_add_f16_e32 v22, v22, v24
	v_fma_f16 v24, v11, s26, v23
	v_add_f16_e32 v37, v39, v37
	v_add_f16_e32 v24, v24, v27
	v_mul_f16_sdwa v27, v11, s26 dst_sel:DWORD dst_unused:UNUSED_PAD src0_sel:WORD_1 src1_sel:DWORD
	v_fma_f16 v23, v11, s26, -v23
	v_pk_mul_f16 v11, v11, s1 op_sel_hi:[1,0]
	v_pk_add_f16 v35, v35, v38
	v_add_f16_e32 v36, v36, v37
	v_add_f16_e32 v31, v32, v31
	v_fma_f16 v32, v4, s27, v27
	v_add_f16_e32 v23, v23, v26
	v_fma_f16 v26, v4, s23, v27
	v_pk_fma_f16 v27, v4, s12, v11 op_sel:[0,0,1] op_sel_hi:[1,0,0]
	v_pk_fma_f16 v4, v4, s12, v11 op_sel:[0,0,1] op_sel_hi:[1,0,0] neg_lo:[1,0,0] neg_hi:[1,0,0]
	v_pk_add_f16 v33, v33, v35
	v_add_f16_e32 v34, v34, v36
	v_mad_u32_u24 v10, v8, 52, v10
	v_pk_add_f16 v3, v4, v3
	v_pack_b32_f16 v4, v16, v25
	v_pack_b32_f16 v11, v14, v21
	v_pk_add_f16 v30, v30, v33
	v_add_f16_e32 v32, v32, v34
	s_barrier
	ds_write2_b32 v10, v11, v4 offset0:1 offset1:2
	v_pack_b32_f16 v4, v15, v31
	v_pack_b32_f16 v11, v18, v29
	v_pk_add_f16 v27, v27, v30
	ds_write2_b32 v10, v11, v4 offset0:3 offset1:4
	v_pack_b32_f16 v4, v24, v32
	v_add_f16_e32 v26, v26, v28
	ds_write2_b32 v10, v9, v4 offset1:5
	v_alignbit_b32 v4, v27, v3, 16
	v_alignbit_b32 v3, v3, v27, 16
	ds_write2_b32 v10, v3, v4 offset0:6 offset1:7
	v_pack_b32_f16 v3, v20, v22
	v_pack_b32_f16 v4, v23, v26
	ds_write2_b32 v10, v4, v3 offset0:8 offset1:9
	v_pack_b32_f16 v3, v12, v13
	v_pack_b32_f16 v4, v17, v19
	ds_write2_b32 v10, v4, v3 offset0:10 offset1:11
	v_pack_b32_f16 v3, v5, v6
	ds_write_b32 v10, v3 offset:48
	v_mul_u32_u24_e32 v3, 12, v8
	v_lshlrev_b32_e32 v8, 2, v3
	s_waitcnt lgkmcnt(0)
	s_barrier
	global_load_dwordx4 v[3:6], v8, s[24:25]
	global_load_dwordx4 v[10:13], v8, s[24:25] offset:16
	global_load_dwordx4 v[14:17], v8, s[24:25] offset:32
	ds_read2_b32 v[18:19], v1 offset0:65 offset1:78
	ds_read2_b32 v[8:9], v1 offset0:13 offset1:26
	;; [unrolled: 1-line block ×4, first 2 shown]
	ds_read_b32 v26, v7
	ds_read_u16 v7, v1 offset:210
	s_waitcnt lgkmcnt(4)
	v_lshrrev_b32_e32 v31, 16, v8
	ds_read2_b32 v[24:25], v1 offset0:117 offset1:130
	v_lshrrev_b32_e32 v27, 16, v18
	v_lshrrev_b32_e32 v28, 16, v19
	s_waitcnt lgkmcnt(4)
	v_lshrrev_b32_e32 v29, 16, v20
	v_lshrrev_b32_e32 v30, 16, v21
	s_waitcnt lgkmcnt(0)
	v_lshrrev_b32_e32 v38, 16, v24
	s_waitcnt vmcnt(2)
	v_mul_f16_sdwa v32, v3, v31 dst_sel:DWORD dst_unused:UNUSED_PAD src0_sel:WORD_1 src1_sel:DWORD
	v_fma_f16 v32, v3, v8, v32
	v_mul_f16_sdwa v8, v3, v8 dst_sel:DWORD dst_unused:UNUSED_PAD src0_sel:WORD_1 src1_sel:DWORD
	v_fma_f16 v31, v3, v31, -v8
	v_lshrrev_b32_e32 v3, 16, v9
	v_mul_f16_sdwa v8, v4, v3 dst_sel:DWORD dst_unused:UNUSED_PAD src0_sel:WORD_1 src1_sel:DWORD
	v_fma_f16 v33, v4, v9, v8
	v_mul_f16_sdwa v8, v4, v9 dst_sel:DWORD dst_unused:UNUSED_PAD src0_sel:WORD_1 src1_sel:DWORD
	v_fma_f16 v34, v4, v3, -v8
	v_lshrrev_b32_e32 v3, 16, v22
	v_mul_f16_sdwa v4, v5, v3 dst_sel:DWORD dst_unused:UNUSED_PAD src0_sel:WORD_1 src1_sel:DWORD
	v_fma_f16 v35, v5, v22, v4
	v_mul_f16_sdwa v4, v5, v22 dst_sel:DWORD dst_unused:UNUSED_PAD src0_sel:WORD_1 src1_sel:DWORD
	v_fma_f16 v36, v5, v3, -v4
	v_mul_f16_sdwa v3, v7, v6 dst_sel:DWORD dst_unused:UNUSED_PAD src0_sel:DWORD src1_sel:WORD_1
	v_fma_f16 v37, v6, v23, v3
	v_mul_f16_sdwa v3, v6, v23 dst_sel:DWORD dst_unused:UNUSED_PAD src0_sel:WORD_1 src1_sel:DWORD
	ds_read2_b32 v[22:23], v1 offset0:143 offset1:156
	s_waitcnt vmcnt(1)
	v_mul_f16_sdwa v4, v27, v10 dst_sel:DWORD dst_unused:UNUSED_PAD src0_sel:DWORD src1_sel:WORD_1
	v_fma_f16 v9, v18, v10, v4
	v_mul_f16_sdwa v4, v18, v10 dst_sel:DWORD dst_unused:UNUSED_PAD src0_sel:DWORD src1_sel:WORD_1
	v_fma_f16 v8, v27, v10, -v4
	v_mul_f16_sdwa v4, v28, v11 dst_sel:DWORD dst_unused:UNUSED_PAD src0_sel:DWORD src1_sel:WORD_1
	v_fma_f16 v39, v7, v6, -v3
	v_lshrrev_b32_e32 v3, 16, v25
	v_fma_f16 v4, v19, v11, v4
	v_mul_f16_sdwa v5, v19, v11 dst_sel:DWORD dst_unused:UNUSED_PAD src0_sel:DWORD src1_sel:WORD_1
	v_mul_f16_sdwa v6, v29, v12 dst_sel:DWORD dst_unused:UNUSED_PAD src0_sel:DWORD src1_sel:WORD_1
	;; [unrolled: 1-line block ×3, first 2 shown]
	s_waitcnt vmcnt(0)
	v_mul_f16_sdwa v18, v38, v14 dst_sel:DWORD dst_unused:UNUSED_PAD src0_sel:DWORD src1_sel:WORD_1
	v_mul_f16_sdwa v19, v24, v14 dst_sel:DWORD dst_unused:UNUSED_PAD src0_sel:DWORD src1_sel:WORD_1
	v_fma_f16 v6, v20, v12, v6
	v_fma_f16 v7, v29, v12, -v7
	s_waitcnt lgkmcnt(0)
	v_lshrrev_b32_e32 v12, 16, v22
	v_fma_f16 v18, v24, v14, v18
	v_fma_f16 v14, v38, v14, -v19
	v_mul_f16_sdwa v19, v3, v15 dst_sel:DWORD dst_unused:UNUSED_PAD src0_sel:DWORD src1_sel:WORD_1
	v_mul_f16_sdwa v20, v25, v15 dst_sel:DWORD dst_unused:UNUSED_PAD src0_sel:DWORD src1_sel:WORD_1
	v_fma_f16 v5, v28, v11, -v5
	v_mul_f16_sdwa v10, v30, v13 dst_sel:DWORD dst_unused:UNUSED_PAD src0_sel:DWORD src1_sel:WORD_1
	v_mul_f16_sdwa v11, v21, v13 dst_sel:DWORD dst_unused:UNUSED_PAD src0_sel:DWORD src1_sel:WORD_1
	v_fma_f16 v19, v25, v15, v19
	v_fma_f16 v15, v3, v15, -v20
	v_mul_f16_sdwa v3, v12, v16 dst_sel:DWORD dst_unused:UNUSED_PAD src0_sel:DWORD src1_sel:WORD_1
	v_fma_f16 v10, v21, v13, v10
	v_fma_f16 v11, v30, v13, -v11
	v_lshrrev_b32_e32 v13, 16, v23
	v_fma_f16 v20, v22, v16, v3
	v_mul_f16_sdwa v3, v22, v16 dst_sel:DWORD dst_unused:UNUSED_PAD src0_sel:DWORD src1_sel:WORD_1
	v_fma_f16 v12, v12, v16, -v3
	v_mul_f16_sdwa v3, v13, v17 dst_sel:DWORD dst_unused:UNUSED_PAD src0_sel:DWORD src1_sel:WORD_1
	v_fma_f16 v16, v23, v17, v3
	v_mul_f16_sdwa v3, v23, v17 dst_sel:DWORD dst_unused:UNUSED_PAD src0_sel:DWORD src1_sel:WORD_1
	v_fma_f16 v13, v13, v17, -v3
	v_add_f16_e32 v3, v32, v26
	v_add_f16_sdwa v17, v31, v26 dst_sel:DWORD dst_unused:UNUSED_PAD src0_sel:DWORD src1_sel:WORD_1
	v_add_f16_e32 v3, v3, v33
	v_add_f16_e32 v17, v17, v34
	;; [unrolled: 1-line block ×21, first 2 shown]
	v_add_f16_sdwa v17, v17, v13 dst_sel:WORD_1 dst_unused:UNUSED_PAD src0_sel:DWORD src1_sel:DWORD
	v_add_f16_e32 v21, v31, v13
	v_sub_f16_e32 v13, v31, v13
	v_or_b32_e32 v3, v17, v3
	v_add_f16_e32 v17, v32, v16
	v_mul_f16_e32 v22, 0xb770, v13
	v_mul_f16_e32 v24, 0xba95, v13
	;; [unrolled: 1-line block ×6, first 2 shown]
	v_sub_f16_e32 v16, v32, v16
	v_fma_f16 v23, v17, s17, v22
	v_fma_f16 v22, v17, s17, -v22
	v_fma_f16 v25, v17, s21, v24
	v_fma_f16 v24, v17, s21, -v24
	;; [unrolled: 2-line block ×6, first 2 shown]
	v_mul_f16_e32 v17, 0x3b15, v21
	v_mul_f16_e32 v41, 0x388b, v21
	;; [unrolled: 1-line block ×6, first 2 shown]
	v_fma_f16 v40, v16, s20, v17
	v_fma_f16 v17, v16, s13, v17
	;; [unrolled: 1-line block ×12, first 2 shown]
	v_add_f16_e32 v21, v23, v26
	v_add_f16_sdwa v23, v40, v26 dst_sel:DWORD dst_unused:UNUSED_PAD src0_sel:DWORD src1_sel:WORD_1
	v_add_f16_e32 v22, v22, v26
	v_add_f16_sdwa v17, v17, v26 dst_sel:DWORD dst_unused:UNUSED_PAD src0_sel:DWORD src1_sel:WORD_1
	;; [unrolled: 2-line block ×12, first 2 shown]
	v_add_f16_e32 v26, v33, v20
	v_sub_f16_e32 v20, v33, v20
	v_add_f16_e32 v33, v34, v12
	v_sub_f16_e32 v12, v34, v12
	v_mul_f16_e32 v34, 0xba95, v12
	v_fma_f16 v49, v26, s21, v34
	v_add_f16_e32 v21, v49, v21
	v_mul_f16_e32 v49, 0x388b, v33
	v_fma_f16 v34, v26, s21, -v34
	v_add_f16_e32 v22, v34, v22
	v_fma_f16 v34, v20, s19, v49
	v_add_f16_e32 v17, v34, v17
	v_mul_f16_e32 v34, 0xbb7b, v12
	v_fma_f16 v50, v20, s22, v49
	v_fma_f16 v49, v26, s26, v34
	v_add_f16_e32 v25, v49, v25
	v_mul_f16_e32 v49, 0xb5ac, v33
	v_fma_f16 v34, v26, s26, -v34
	v_add_f16_e32 v24, v34, v24
	v_fma_f16 v34, v20, s23, v49
	v_add_f16_e32 v34, v34, v41
	v_mul_f16_e32 v41, 0xb3a8, v12
	v_add_f16_e32 v23, v50, v23
	v_fma_f16 v50, v20, s27, v49
	v_fma_f16 v49, v26, s31, v41
	v_add_f16_e32 v28, v49, v28
	v_mul_f16_e32 v49, 0xbbc4, v33
	v_fma_f16 v41, v26, s31, -v41
	v_add_f16_e32 v27, v41, v27
	v_fma_f16 v41, v20, s33, v49
	v_add_f16_e32 v41, v41, v43
	v_mul_f16_e32 v43, 0x394e, v12
	v_add_f16_e32 v40, v50, v40
	;; [unrolled: 10-line block ×3, first 2 shown]
	v_fma_f16 v50, v20, s28, v49
	v_fma_f16 v49, v26, s1, v45
	v_add_f16_e32 v32, v49, v32
	v_mul_f16_e32 v49, 0x2fb7, v33
	v_fma_f16 v45, v26, s1, -v45
	v_add_f16_e32 v31, v45, v31
	v_fma_f16 v45, v20, s12, v49
	v_mul_f16_e32 v12, 0x3770, v12
	v_add_f16_e32 v45, v45, v47
	v_fma_f16 v47, v26, s17, v12
	v_mul_f16_e32 v33, 0x3b15, v33
	v_fma_f16 v12, v26, s17, -v12
	v_add_f16_e32 v44, v50, v44
	v_fma_f16 v50, v20, s0, v49
	v_add_f16_e32 v38, v47, v38
	v_fma_f16 v47, v20, s13, v33
	;; [unrolled: 2-line block ×3, first 2 shown]
	v_add_f16_e32 v20, v36, v15
	v_sub_f16_e32 v15, v36, v15
	v_add_f16_e32 v13, v13, v16
	v_add_f16_e32 v16, v35, v19
	v_mul_f16_e32 v26, 0xbbf1, v15
	v_fma_f16 v33, v16, s1, v26
	v_sub_f16_e32 v19, v35, v19
	v_add_f16_e32 v21, v33, v21
	v_mul_f16_e32 v33, 0x2fb7, v20
	v_fma_f16 v26, v16, s1, -v26
	v_add_f16_e32 v22, v26, v22
	v_fma_f16 v26, v19, s0, v33
	v_add_f16_e32 v17, v26, v17
	v_mul_f16_e32 v26, 0xb3a8, v15
	v_fma_f16 v35, v19, s12, v33
	v_fma_f16 v33, v16, s31, v26
	v_add_f16_e32 v25, v33, v25
	v_mul_f16_e32 v33, 0xbbc4, v20
	v_fma_f16 v26, v16, s31, -v26
	v_add_f16_e32 v23, v35, v23
	v_fma_f16 v35, v19, s34, v33
	v_add_f16_e32 v24, v26, v24
	v_fma_f16 v26, v19, s33, v33
	v_mul_f16_e32 v33, 0x3b7b, v15
	v_add_f16_e32 v26, v26, v34
	v_fma_f16 v34, v16, s26, v33
	v_add_f16_e32 v28, v34, v28
	v_mul_f16_e32 v34, 0xb5ac, v20
	v_fma_f16 v33, v16, s26, -v33
	v_fma_f16 v36, v19, s23, v34
	v_add_f16_e32 v27, v33, v27
	v_fma_f16 v33, v19, s27, v34
	v_mul_f16_e32 v34, 0x3770, v15
	v_add_f16_e32 v35, v35, v40
	v_fma_f16 v40, v16, s17, v34
	v_add_f16_e32 v30, v40, v30
	v_mul_f16_e32 v40, 0x3b15, v20
	v_fma_f16 v34, v16, s17, -v34
	v_add_f16_e32 v33, v33, v41
	v_fma_f16 v41, v19, s13, v40
	v_add_f16_e32 v29, v34, v29
	v_fma_f16 v34, v19, s20, v40
	v_mul_f16_e32 v40, 0xba95, v15
	v_add_f16_e32 v36, v36, v42
	v_fma_f16 v42, v16, s21, v40
	v_add_f16_e32 v32, v42, v32
	v_mul_f16_e32 v42, 0x388b, v20
	v_fma_f16 v40, v16, s21, -v40
	v_mul_f16_e32 v15, 0xb94e, v15
	v_add_f16_e32 v34, v34, v43
	v_fma_f16 v43, v19, s22, v42
	v_add_f16_e32 v31, v40, v31
	v_fma_f16 v40, v19, s19, v42
	v_fma_f16 v42, v16, s29, v15
	v_mul_f16_e32 v20, 0xb9fd, v20
	v_fma_f16 v15, v16, s29, -v15
	v_add_f16_e32 v12, v15, v12
	v_fma_f16 v15, v19, s28, v20
	v_add_f16_e32 v13, v15, v13
	v_add_f16_e32 v15, v37, v18
	v_sub_f16_e32 v16, v37, v18
	v_add_f16_e32 v18, v39, v14
	v_sub_f16_e32 v14, v39, v14
	v_add_f16_e32 v38, v42, v38
	v_fma_f16 v42, v19, s30, v20
	v_mul_f16_e32 v19, 0xbb7b, v14
	v_fma_f16 v20, v15, s26, v19
	v_add_f16_e32 v20, v20, v21
	v_mul_f16_e32 v21, 0xb5ac, v18
	v_fma_f16 v37, v16, s27, v21
	v_fma_f16 v21, v16, s23, v21
	v_fma_f16 v19, v15, s26, -v19
	v_add_f16_e32 v17, v21, v17
	v_mul_f16_e32 v21, 0x394e, v14
	v_add_f16_e32 v19, v19, v22
	v_fma_f16 v22, v15, s29, v21
	v_add_f16_e32 v22, v22, v25
	v_mul_f16_e32 v25, 0xb9fd, v18
	v_fma_f16 v21, v15, s29, -v21
	v_add_f16_e32 v23, v37, v23
	v_fma_f16 v37, v16, s28, v25
	v_add_f16_e32 v21, v21, v24
	v_fma_f16 v24, v16, s30, v25
	v_mul_f16_e32 v25, 0x3770, v14
	v_add_f16_e32 v24, v24, v26
	v_fma_f16 v26, v15, s17, v25
	v_add_f16_e32 v26, v26, v28
	v_mul_f16_e32 v28, 0x3b15, v18
	v_fma_f16 v25, v15, s17, -v25
	v_add_f16_e32 v35, v37, v35
	v_fma_f16 v37, v16, s13, v28
	v_add_f16_e32 v25, v25, v27
	v_fma_f16 v27, v16, s20, v28
	;; [unrolled: 10-line block ×3, first 2 shown]
	v_mul_f16_e32 v33, 0x33a8, v14
	v_add_f16_e32 v29, v29, v34
	v_fma_f16 v34, v15, s31, v33
	v_add_f16_e32 v32, v34, v32
	v_mul_f16_e32 v34, 0xbbc4, v18
	v_fma_f16 v33, v15, s31, -v33
	v_mul_f16_e32 v14, 0x3a95, v14
	v_fma_f16 v39, v16, s33, v34
	v_add_f16_e32 v31, v33, v31
	v_fma_f16 v33, v16, s34, v34
	v_fma_f16 v34, v15, s21, v14
	v_mul_f16_e32 v18, 0x388b, v18
	v_fma_f16 v14, v15, s21, -v14
	v_add_f16_e32 v12, v14, v12
	v_fma_f16 v14, v16, s22, v18
	v_add_f16_e32 v13, v14, v13
	v_add_f16_e32 v14, v9, v10
	v_sub_f16_e32 v9, v9, v10
	v_add_f16_e32 v10, v8, v11
	v_add_f16_e32 v34, v34, v38
	v_fma_f16 v38, v16, s19, v18
	v_sub_f16_e32 v8, v8, v11
	v_mul_f16_e32 v16, 0xb9fd, v10
	v_mul_f16_e32 v11, 0xb94e, v8
	v_fma_f16 v18, v9, s30, v16
	v_fma_f16 v16, v9, s28, v16
	;; [unrolled: 1-line block ×3, first 2 shown]
	v_fma_f16 v11, v14, s29, -v11
	v_add_f16_e32 v16, v16, v17
	v_mul_f16_e32 v17, 0x3bf1, v8
	v_add_f16_e32 v15, v15, v20
	v_add_f16_e32 v11, v11, v19
	v_fma_f16 v19, v14, s1, v17
	v_mul_f16_e32 v20, 0x2fb7, v10
	v_fma_f16 v17, v14, s1, -v17
	v_add_f16_e32 v19, v19, v22
	v_fma_f16 v22, v9, s0, v20
	v_add_f16_e32 v17, v17, v21
	v_fma_f16 v20, v9, s12, v20
	v_mul_f16_e32 v21, 0xba95, v8
	v_add_f16_e32 v18, v18, v23
	v_add_f16_e32 v20, v20, v24
	v_fma_f16 v23, v14, s21, v21
	v_mul_f16_e32 v24, 0x388b, v10
	v_fma_f16 v21, v14, s21, -v21
	v_add_f16_e32 v23, v23, v26
	v_fma_f16 v26, v9, s22, v24
	v_add_f16_e32 v21, v21, v25
	v_fma_f16 v24, v9, s19, v24
	v_mul_f16_e32 v25, 0x33a8, v8
	v_add_f16_e32 v24, v24, v27
	v_fma_f16 v27, v14, s31, v25
	v_add_f16_e32 v27, v27, v30
	v_mul_f16_e32 v30, 0xbbc4, v10
	v_fma_f16 v25, v14, s31, -v25
	v_add_f16_e32 v25, v25, v28
	v_fma_f16 v28, v9, s34, v30
	v_add_f16_e32 v28, v28, v29
	v_mul_f16_e32 v29, 0x3770, v8
	v_add_f16_e32 v22, v22, v35
	v_fma_f16 v35, v9, s33, v30
	v_fma_f16 v30, v14, s17, v29
	v_add_f16_e32 v30, v30, v32
	v_mul_f16_e32 v32, 0x3b15, v10
	v_fma_f16 v29, v14, s17, -v29
	v_mul_f16_e32 v8, 0xbb7b, v8
	v_add_f16_e32 v40, v40, v45
	v_add_f16_e32 v26, v26, v36
	v_fma_f16 v36, v9, s13, v32
	v_add_f16_e32 v29, v29, v31
	v_fma_f16 v31, v9, s20, v32
	v_fma_f16 v32, v14, s26, v8
	v_fma_f16 v8, v14, s26, -v8
	v_add_f16_e32 v33, v33, v40
	v_mul_f16_e32 v10, 0xb5ac, v10
	v_add_f16_e32 v8, v8, v12
	v_add_f16_e32 v12, v5, v7
	v_sub_f16_e32 v5, v5, v7
	v_add_f16_e32 v31, v31, v33
	v_fma_f16 v33, v9, s27, v10
	v_fma_f16 v9, v9, s23, v10
	v_add_f16_e32 v10, v4, v6
	v_sub_f16_e32 v4, v4, v6
	v_mul_f16_e32 v6, 0xb3a8, v5
	v_add_f16_e32 v9, v9, v13
	v_fma_f16 v7, v10, s31, v6
	v_mul_f16_e32 v13, 0xbbc4, v12
	v_fma_f16 v6, v10, s31, -v6
	v_fma_f16 v14, v4, s34, v13
	v_add_f16_e32 v6, v6, v11
	v_fma_f16 v11, v4, s33, v13
	v_mul_f16_e32 v13, 0x3770, v5
	v_add_f16_e32 v7, v7, v15
	v_add_f16_e32 v11, v11, v16
	v_fma_f16 v15, v10, s17, v13
	v_mul_f16_e32 v16, 0x3b15, v12
	v_fma_f16 v13, v10, s17, -v13
	v_add_f16_e32 v14, v14, v18
	v_fma_f16 v18, v4, s13, v16
	v_add_f16_e32 v13, v13, v17
	v_fma_f16 v16, v4, s20, v16
	v_mul_f16_e32 v17, 0xb94e, v5
	v_add_f16_e32 v15, v15, v19
	v_add_f16_e32 v16, v16, v20
	v_fma_f16 v19, v10, s29, v17
	v_mul_f16_e32 v20, 0xb9fd, v12
	v_fma_f16 v17, v10, s29, -v17
	v_add_f16_e32 v18, v18, v22
	v_fma_f16 v22, v4, s30, v20
	v_add_f16_e32 v17, v17, v21
	v_fma_f16 v20, v4, s28, v20
	v_mul_f16_e32 v21, 0x3a95, v5
	v_add_f16_e32 v46, v50, v46
	v_add_f16_e32 v19, v19, v23
	;; [unrolled: 1-line block ×3, first 2 shown]
	v_fma_f16 v23, v10, s21, v21
	v_mul_f16_e32 v24, 0x388b, v12
	v_fma_f16 v21, v10, s21, -v21
	v_add_f16_e32 v47, v47, v48
	v_add_f16_e32 v41, v41, v44
	;; [unrolled: 1-line block ×4, first 2 shown]
	v_fma_f16 v26, v4, s19, v24
	v_add_f16_e32 v21, v21, v25
	v_fma_f16 v24, v4, s22, v24
	v_mul_f16_e32 v25, 0xbb7b, v5
	v_add_f16_e32 v42, v42, v47
	v_add_f16_e32 v37, v37, v41
	;; [unrolled: 1-line block ×5, first 2 shown]
	v_fma_f16 v27, v10, s26, v25
	v_mul_f16_e32 v28, 0xb5ac, v12
	v_add_f16_e32 v38, v38, v42
	v_add_f16_e32 v35, v35, v37
	;; [unrolled: 1-line block ×4, first 2 shown]
	v_fma_f16 v30, v4, s27, v28
	v_fma_f16 v25, v10, s26, -v25
	v_fma_f16 v28, v4, s23, v28
	v_mul_f16_e32 v5, 0x3bf1, v5
	v_mul_f16_e32 v12, 0x2fb7, v12
	v_pack_b32_f16 v7, v7, v14
	v_add_f16_e32 v32, v32, v34
	v_add_f16_e32 v33, v33, v38
	;; [unrolled: 1-line block ×6, first 2 shown]
	v_fma_f16 v29, v10, s1, v5
	v_fma_f16 v31, v4, s0, v12
	v_fma_f16 v5, v10, s1, -v5
	v_fma_f16 v4, v4, s12, v12
	s_barrier
	ds_write2_b32 v1, v3, v7 offset1:13
	v_pack_b32_f16 v3, v15, v18
	v_pack_b32_f16 v7, v19, v22
	v_add_f16_e32 v29, v29, v32
	v_add_f16_e32 v31, v31, v33
	;; [unrolled: 1-line block ×4, first 2 shown]
	ds_write2_b32 v1, v3, v7 offset0:26 offset1:39
	v_pack_b32_f16 v3, v23, v26
	v_pack_b32_f16 v7, v27, v30
	ds_write2_b32 v1, v3, v7 offset0:52 offset1:65
	v_pack_b32_f16 v3, v29, v31
	v_pack_b32_f16 v4, v5, v4
	;; [unrolled: 3-line block ×3, first 2 shown]
	ds_write2_b32 v1, v3, v4 offset0:104 offset1:117
	v_mul_u32_u24_e32 v3, 0x1556, v0
	v_lshrrev_b32_e32 v8, 16, v3
	v_mul_lo_u16_e32 v3, 12, v8
	v_sub_u16_e32 v9, v0, v3
	v_mad_u64_u32 v[3:4], s[0:1], s8, v9, 0
	v_pack_b32_f16 v0, v6, v11
	v_pack_b32_f16 v5, v17, v20
	;; [unrolled: 1-line block ×3, first 2 shown]
	ds_write_b32 v1, v0 offset:624
	v_mov_b32_e32 v0, v4
	ds_write2_b32 v1, v5, v7 offset0:130 offset1:143
	v_mad_u64_u32 v[0:1], s[0:1], s9, v9, v[0:1]
	s_lshl_b64 s[0:1], s[4:5], 2
	s_add_u32 s2, s2, s0
	s_addc_u32 s3, s3, s1
	s_lshl_b64 s[0:1], s[14:15], 2
	s_add_u32 s2, s2, s0
	v_mov_b32_e32 v4, v0
	v_mul_lo_u32 v1, s10, v8
	v_mul_lo_u16_e32 v0, 0xa9, v9
	s_addc_u32 s3, s3, s1
	s_lshl_b64 s[0:1], s[6:7], 2
	v_lshlrev_b32_e32 v0, 2, v0
	v_lshlrev_b32_e32 v5, 2, v8
	s_add_u32 s0, s2, s0
	v_lshlrev_b64 v[3:4], 2, v[3:4]
	v_add3_u32 v6, 0, v0, v5
	s_addc_u32 s1, s3, s1
	s_waitcnt lgkmcnt(0)
	s_barrier
	ds_read_b32 v6, v6
	v_mov_b32_e32 v7, s1
	v_add_co_u32_e32 v8, vcc, s0, v3
	v_addc_co_u32_e32 v7, vcc, v7, v4, vcc
	v_lshlrev_b64 v[3:4], 2, v[1:2]
	s_mul_i32 s0, s10, 13
	v_add_co_u32_e32 v3, vcc, v8, v3
	v_addc_co_u32_e32 v4, vcc, v7, v4, vcc
	v_add3_u32 v0, 0, v5, v0
	s_waitcnt lgkmcnt(0)
	global_store_dword v[3:4], v6, off
	v_add_u32_e32 v1, s0, v1
	ds_read2_b32 v[5:6], v0 offset0:13 offset1:26
	v_lshlrev_b64 v[3:4], 2, v[1:2]
	v_add_u32_e32 v1, s0, v1
	v_add_co_u32_e32 v3, vcc, v8, v3
	v_addc_co_u32_e32 v4, vcc, v7, v4, vcc
	s_waitcnt lgkmcnt(0)
	global_store_dword v[3:4], v5, off
	v_lshlrev_b64 v[3:4], 2, v[1:2]
	v_add_u32_e32 v1, s0, v1
	v_add_co_u32_e32 v3, vcc, v8, v3
	v_addc_co_u32_e32 v4, vcc, v7, v4, vcc
	global_store_dword v[3:4], v6, off
	ds_read2_b32 v[3:4], v0 offset0:39 offset1:52
	v_lshlrev_b64 v[5:6], 2, v[1:2]
	v_add_u32_e32 v1, s0, v1
	v_add_co_u32_e32 v5, vcc, v8, v5
	v_addc_co_u32_e32 v6, vcc, v7, v6, vcc
	s_waitcnt lgkmcnt(0)
	global_store_dword v[5:6], v3, off
	v_lshlrev_b64 v[5:6], 2, v[1:2]
	v_add_u32_e32 v1, s0, v1
	v_add_co_u32_e32 v5, vcc, v8, v5
	v_addc_co_u32_e32 v6, vcc, v7, v6, vcc
	global_store_dword v[5:6], v4, off
	;; [unrolled: 12-line block ×5, first 2 shown]
	v_lshlrev_b64 v[5:6], 2, v[1:2]
	ds_read2_b32 v[3:4], v0 offset0:143 offset1:156
	v_add_u32_e32 v1, s0, v1
	v_add_co_u32_e32 v5, vcc, v8, v5
	v_lshlrev_b64 v[0:1], 2, v[1:2]
	v_addc_co_u32_e32 v6, vcc, v7, v6, vcc
	v_add_co_u32_e32 v0, vcc, v8, v0
	v_addc_co_u32_e32 v1, vcc, v7, v1, vcc
	s_waitcnt lgkmcnt(0)
	global_store_dword v[5:6], v3, off
	global_store_dword v[0:1], v4, off
	s_endpgm
	.section	.rodata,"a",@progbits
	.p2align	6, 0x0
	.amdhsa_kernel fft_rtc_back_len169_factors_13_13_wgs_156_tpt_13_half_op_CI_CI_sbrc_xy_z_aligned
		.amdhsa_group_segment_fixed_size 0
		.amdhsa_private_segment_fixed_size 0
		.amdhsa_kernarg_size 104
		.amdhsa_user_sgpr_count 6
		.amdhsa_user_sgpr_private_segment_buffer 1
		.amdhsa_user_sgpr_dispatch_ptr 0
		.amdhsa_user_sgpr_queue_ptr 0
		.amdhsa_user_sgpr_kernarg_segment_ptr 1
		.amdhsa_user_sgpr_dispatch_id 0
		.amdhsa_user_sgpr_flat_scratch_init 0
		.amdhsa_user_sgpr_private_segment_size 0
		.amdhsa_uses_dynamic_stack 0
		.amdhsa_system_sgpr_private_segment_wavefront_offset 0
		.amdhsa_system_sgpr_workgroup_id_x 1
		.amdhsa_system_sgpr_workgroup_id_y 0
		.amdhsa_system_sgpr_workgroup_id_z 0
		.amdhsa_system_sgpr_workgroup_info 0
		.amdhsa_system_vgpr_workitem_id 0
		.amdhsa_next_free_vgpr 51
		.amdhsa_next_free_sgpr 35
		.amdhsa_reserve_vcc 1
		.amdhsa_reserve_flat_scratch 0
		.amdhsa_float_round_mode_32 0
		.amdhsa_float_round_mode_16_64 0
		.amdhsa_float_denorm_mode_32 3
		.amdhsa_float_denorm_mode_16_64 3
		.amdhsa_dx10_clamp 1
		.amdhsa_ieee_mode 1
		.amdhsa_fp16_overflow 0
		.amdhsa_exception_fp_ieee_invalid_op 0
		.amdhsa_exception_fp_denorm_src 0
		.amdhsa_exception_fp_ieee_div_zero 0
		.amdhsa_exception_fp_ieee_overflow 0
		.amdhsa_exception_fp_ieee_underflow 0
		.amdhsa_exception_fp_ieee_inexact 0
		.amdhsa_exception_int_div_zero 0
	.end_amdhsa_kernel
	.text
.Lfunc_end0:
	.size	fft_rtc_back_len169_factors_13_13_wgs_156_tpt_13_half_op_CI_CI_sbrc_xy_z_aligned, .Lfunc_end0-fft_rtc_back_len169_factors_13_13_wgs_156_tpt_13_half_op_CI_CI_sbrc_xy_z_aligned
                                        ; -- End function
	.section	.AMDGPU.csdata,"",@progbits
; Kernel info:
; codeLenInByte = 8964
; NumSgprs: 39
; NumVgprs: 51
; ScratchSize: 0
; MemoryBound: 0
; FloatMode: 240
; IeeeMode: 1
; LDSByteSize: 0 bytes/workgroup (compile time only)
; SGPRBlocks: 4
; VGPRBlocks: 12
; NumSGPRsForWavesPerEU: 39
; NumVGPRsForWavesPerEU: 51
; Occupancy: 4
; WaveLimiterHint : 1
; COMPUTE_PGM_RSRC2:SCRATCH_EN: 0
; COMPUTE_PGM_RSRC2:USER_SGPR: 6
; COMPUTE_PGM_RSRC2:TRAP_HANDLER: 0
; COMPUTE_PGM_RSRC2:TGID_X_EN: 1
; COMPUTE_PGM_RSRC2:TGID_Y_EN: 0
; COMPUTE_PGM_RSRC2:TGID_Z_EN: 0
; COMPUTE_PGM_RSRC2:TIDIG_COMP_CNT: 0
	.type	__hip_cuid_4df1ec4b31576f89,@object ; @__hip_cuid_4df1ec4b31576f89
	.section	.bss,"aw",@nobits
	.globl	__hip_cuid_4df1ec4b31576f89
__hip_cuid_4df1ec4b31576f89:
	.byte	0                               ; 0x0
	.size	__hip_cuid_4df1ec4b31576f89, 1

	.ident	"AMD clang version 19.0.0git (https://github.com/RadeonOpenCompute/llvm-project roc-6.4.0 25133 c7fe45cf4b819c5991fe208aaa96edf142730f1d)"
	.section	".note.GNU-stack","",@progbits
	.addrsig
	.addrsig_sym __hip_cuid_4df1ec4b31576f89
	.amdgpu_metadata
---
amdhsa.kernels:
  - .args:
      - .actual_access:  read_only
        .address_space:  global
        .offset:         0
        .size:           8
        .value_kind:     global_buffer
      - .offset:         8
        .size:           8
        .value_kind:     by_value
      - .actual_access:  read_only
        .address_space:  global
        .offset:         16
        .size:           8
        .value_kind:     global_buffer
      - .actual_access:  read_only
        .address_space:  global
        .offset:         24
        .size:           8
        .value_kind:     global_buffer
      - .actual_access:  read_only
        .address_space:  global
        .offset:         32
        .size:           8
        .value_kind:     global_buffer
      - .offset:         40
        .size:           8
        .value_kind:     by_value
      - .actual_access:  read_only
        .address_space:  global
        .offset:         48
        .size:           8
        .value_kind:     global_buffer
      - .actual_access:  read_only
        .address_space:  global
        .offset:         56
        .size:           8
        .value_kind:     global_buffer
      - .offset:         64
        .size:           4
        .value_kind:     by_value
      - .actual_access:  read_only
        .address_space:  global
        .offset:         72
        .size:           8
        .value_kind:     global_buffer
      - .actual_access:  read_only
        .address_space:  global
        .offset:         80
        .size:           8
        .value_kind:     global_buffer
      - .actual_access:  read_only
        .address_space:  global
        .offset:         88
        .size:           8
        .value_kind:     global_buffer
      - .actual_access:  write_only
        .address_space:  global
        .offset:         96
        .size:           8
        .value_kind:     global_buffer
    .group_segment_fixed_size: 0
    .kernarg_segment_align: 8
    .kernarg_segment_size: 104
    .language:       OpenCL C
    .language_version:
      - 2
      - 0
    .max_flat_workgroup_size: 156
    .name:           fft_rtc_back_len169_factors_13_13_wgs_156_tpt_13_half_op_CI_CI_sbrc_xy_z_aligned
    .private_segment_fixed_size: 0
    .sgpr_count:     39
    .sgpr_spill_count: 0
    .symbol:         fft_rtc_back_len169_factors_13_13_wgs_156_tpt_13_half_op_CI_CI_sbrc_xy_z_aligned.kd
    .uniform_work_group_size: 1
    .uses_dynamic_stack: false
    .vgpr_count:     51
    .vgpr_spill_count: 0
    .wavefront_size: 64
amdhsa.target:   amdgcn-amd-amdhsa--gfx906
amdhsa.version:
  - 1
  - 2
...

	.end_amdgpu_metadata
